;; amdgpu-corpus repo=ROCm/rocFFT kind=compiled arch=gfx906 opt=O3
	.text
	.amdgcn_target "amdgcn-amd-amdhsa--gfx906"
	.amdhsa_code_object_version 6
	.protected	fft_rtc_back_len200_factors_5_8_5_wgs_400_tpt_40_dp_ip_CI_sbcc_twdbase6_3step_dirReg ; -- Begin function fft_rtc_back_len200_factors_5_8_5_wgs_400_tpt_40_dp_ip_CI_sbcc_twdbase6_3step_dirReg
	.globl	fft_rtc_back_len200_factors_5_8_5_wgs_400_tpt_40_dp_ip_CI_sbcc_twdbase6_3step_dirReg
	.p2align	8
	.type	fft_rtc_back_len200_factors_5_8_5_wgs_400_tpt_40_dp_ip_CI_sbcc_twdbase6_3step_dirReg,@function
fft_rtc_back_len200_factors_5_8_5_wgs_400_tpt_40_dp_ip_CI_sbcc_twdbase6_3step_dirReg: ; @fft_rtc_back_len200_factors_5_8_5_wgs_400_tpt_40_dp_ip_CI_sbcc_twdbase6_3step_dirReg
; %bb.0:
	s_load_dwordx8 s[8:15], s[4:5], 0x8
	s_movk_i32 s0, 0xc0
	v_cmp_gt_u32_e32 vcc, s0, v0
	s_and_saveexec_b64 s[0:1], vcc
	s_cbranch_execz .LBB0_2
; %bb.1:
	v_lshlrev_b32_e32 v5, 4, v0
	s_waitcnt lgkmcnt(0)
	global_load_dwordx4 v[1:4], v5, s[8:9]
	v_add_u32_e32 v5, 0, v5
	v_add_u32_e32 v5, 0x7d00, v5
	s_waitcnt vmcnt(0)
	ds_write2_b64 v5, v[1:2], v[3:4] offset1:1
.LBB0_2:
	s_or_b64 exec, exec, s[0:1]
	s_waitcnt lgkmcnt(0)
	s_load_dwordx2 s[20:21], s[12:13], 0x8
	s_mov_b32 s7, 0
	s_mov_b64 s[24:25], 0
	s_waitcnt lgkmcnt(0)
	s_add_u32 s0, s20, -1
	s_addc_u32 s1, s21, -1
	s_add_u32 s2, 0, 0x99986000
	s_addc_u32 s3, 0, 0x59
	s_mul_hi_u32 s9, s2, -10
	s_add_i32 s3, s3, 0x19999940
	s_sub_i32 s9, s9, s2
	s_mul_i32 s18, s3, -10
	s_mul_i32 s8, s2, -10
	s_add_i32 s9, s9, s18
	s_mul_hi_u32 s16, s3, s8
	s_mul_i32 s17, s3, s8
	s_mul_i32 s19, s2, s9
	s_mul_hi_u32 s8, s2, s8
	s_mul_hi_u32 s18, s2, s9
	s_add_u32 s8, s8, s19
	s_addc_u32 s18, 0, s18
	s_add_u32 s8, s8, s17
	s_mul_hi_u32 s19, s3, s9
	s_addc_u32 s8, s18, s16
	s_addc_u32 s16, s19, 0
	s_mul_i32 s9, s3, s9
	s_add_u32 s8, s8, s9
	v_mov_b32_e32 v1, s8
	s_addc_u32 s9, 0, s16
	v_add_co_u32_e32 v1, vcc, s2, v1
	s_cmp_lg_u64 vcc, 0
	s_addc_u32 s2, s3, s9
	v_readfirstlane_b32 s9, v1
	s_mul_i32 s8, s0, s2
	s_mul_hi_u32 s16, s0, s9
	s_mul_hi_u32 s3, s0, s2
	s_add_u32 s8, s16, s8
	s_addc_u32 s3, 0, s3
	s_mul_hi_u32 s17, s1, s9
	s_mul_i32 s9, s1, s9
	s_add_u32 s8, s8, s9
	s_mul_hi_u32 s16, s1, s2
	s_addc_u32 s3, s3, s17
	s_addc_u32 s8, s16, 0
	s_mul_i32 s2, s1, s2
	s_add_u32 s2, s3, s2
	s_addc_u32 s3, 0, s8
	s_add_u32 s8, s2, 1
	s_addc_u32 s9, s3, 0
	s_add_u32 s16, s2, 2
	s_mul_i32 s18, s3, 10
	s_mul_hi_u32 s19, s2, 10
	s_addc_u32 s17, s3, 0
	s_add_i32 s19, s19, s18
	s_mul_i32 s18, s2, 10
	v_mov_b32_e32 v1, s18
	v_sub_co_u32_e32 v1, vcc, s0, v1
	s_cmp_lg_u64 vcc, 0
	s_subb_u32 s0, s1, s19
	v_subrev_co_u32_e32 v2, vcc, 10, v1
	s_cmp_lg_u64 vcc, 0
	s_subb_u32 s1, s0, 0
	v_readfirstlane_b32 s18, v2
	s_cmp_gt_u32 s18, 9
	s_cselect_b32 s18, -1, 0
	s_cmp_eq_u32 s1, 0
	s_cselect_b32 s1, s18, -1
	s_cmp_lg_u32 s1, 0
	s_cselect_b32 s1, s16, s8
	s_cselect_b32 s8, s17, s9
	v_readfirstlane_b32 s9, v1
	s_cmp_gt_u32 s9, 9
	s_cselect_b32 s9, -1, 0
	s_cmp_eq_u32 s0, 0
	s_cselect_b32 s0, s9, -1
	s_cmp_lg_u32 s0, 0
	s_cselect_b32 s1, s1, s2
	s_cselect_b32 s0, s8, s3
	s_add_u32 s22, s1, 1
	s_addc_u32 s23, s0, 0
	v_mov_b32_e32 v1, s22
	v_mov_b32_e32 v2, s23
	v_cmp_lt_u64_e32 vcc, s[6:7], v[1:2]
	s_cbranch_vccnz .LBB0_4
; %bb.3:
	v_cvt_f32_u32_e32 v1, s22
	s_sub_i32 s0, 0, s22
	s_mov_b32 s25, s7
	v_rcp_iflag_f32_e32 v1, v1
	v_mul_f32_e32 v1, 0x4f7ffffe, v1
	v_cvt_u32_f32_e32 v1, v1
	v_readfirstlane_b32 s1, v1
	s_mul_i32 s0, s0, s1
	s_mul_hi_u32 s0, s1, s0
	s_add_i32 s1, s1, s0
	s_mul_hi_u32 s0, s6, s1
	s_mul_i32 s2, s0, s22
	s_sub_i32 s2, s6, s2
	s_add_i32 s1, s0, 1
	s_sub_i32 s3, s2, s22
	s_cmp_ge_u32 s2, s22
	s_cselect_b32 s0, s1, s0
	s_cselect_b32 s2, s3, s2
	s_add_i32 s1, s0, 1
	s_cmp_ge_u32 s2, s22
	s_cselect_b32 s24, s1, s0
.LBB0_4:
	s_mul_i32 s0, s24, s23
	s_mul_hi_u32 s1, s24, s22
	s_load_dwordx2 s[2:3], s[4:5], 0x58
	s_load_dwordx2 s[8:9], s[4:5], 0x0
	s_load_dwordx4 s[16:19], s[14:15], 0x0
	s_add_i32 s1, s1, s0
	s_mul_i32 s0, s24, s22
	s_sub_u32 s36, s6, s0
	s_subb_u32 s0, 0, s1
	s_mul_i32 s0, s0, 10
	s_mul_hi_u32 s33, s36, 10
	s_add_i32 s33, s33, s0
	s_mul_i32 s36, s36, 10
	s_waitcnt lgkmcnt(0)
	s_mul_i32 s0, s18, s33
	s_mul_hi_u32 s1, s18, s36
	s_add_i32 s0, s1, s0
	s_mul_i32 s1, s19, s36
	s_add_i32 s37, s0, s1
	v_cmp_lt_u64_e64 s[0:1], s[10:11], 3
	s_mul_i32 s38, s18, s36
	s_and_b64 vcc, exec, s[0:1]
	s_cbranch_vccnz .LBB0_14
; %bb.5:
	s_add_u32 s4, s14, 16
	s_addc_u32 s5, s15, 0
	s_add_u32 s12, s12, 16
	v_mov_b32_e32 v1, s10
	s_addc_u32 s13, s13, 0
	s_mov_b64 s[26:27], 2
	s_mov_b32 s28, 0
	v_mov_b32_e32 v2, s11
.LBB0_6:                                ; =>This Inner Loop Header: Depth=1
	s_load_dwordx2 s[30:31], s[12:13], 0x0
	s_waitcnt lgkmcnt(0)
	s_or_b64 s[0:1], s[24:25], s[30:31]
	s_mov_b32 s29, s1
	s_cmp_lg_u64 s[28:29], 0
	s_cbranch_scc0 .LBB0_11
; %bb.7:                                ;   in Loop: Header=BB0_6 Depth=1
	v_cvt_f32_u32_e32 v3, s30
	v_cvt_f32_u32_e32 v4, s31
	s_sub_u32 s0, 0, s30
	s_subb_u32 s1, 0, s31
	v_mac_f32_e32 v3, 0x4f800000, v4
	v_rcp_f32_e32 v3, v3
	v_mul_f32_e32 v3, 0x5f7ffffc, v3
	v_mul_f32_e32 v4, 0x2f800000, v3
	v_trunc_f32_e32 v4, v4
	v_mac_f32_e32 v3, 0xcf800000, v4
	v_cvt_u32_f32_e32 v4, v4
	v_cvt_u32_f32_e32 v3, v3
	v_readfirstlane_b32 s29, v4
	v_readfirstlane_b32 s34, v3
	s_mul_i32 s35, s0, s29
	s_mul_hi_u32 s40, s0, s34
	s_mul_i32 s39, s1, s34
	s_add_i32 s35, s40, s35
	s_mul_i32 s41, s0, s34
	s_add_i32 s35, s35, s39
	s_mul_hi_u32 s39, s34, s35
	s_mul_i32 s40, s34, s35
	s_mul_hi_u32 s34, s34, s41
	s_add_u32 s34, s34, s40
	s_addc_u32 s39, 0, s39
	s_mul_hi_u32 s42, s29, s41
	s_mul_i32 s41, s29, s41
	s_add_u32 s34, s34, s41
	s_mul_hi_u32 s40, s29, s35
	s_addc_u32 s34, s39, s42
	s_addc_u32 s39, s40, 0
	s_mul_i32 s35, s29, s35
	s_add_u32 s34, s34, s35
	s_addc_u32 s35, 0, s39
	v_add_co_u32_e32 v3, vcc, s34, v3
	s_cmp_lg_u64 vcc, 0
	s_addc_u32 s29, s29, s35
	v_readfirstlane_b32 s35, v3
	s_mul_i32 s34, s0, s29
	s_mul_hi_u32 s39, s0, s35
	s_add_i32 s34, s39, s34
	s_mul_i32 s1, s1, s35
	s_add_i32 s34, s34, s1
	s_mul_i32 s0, s0, s35
	s_mul_hi_u32 s39, s29, s0
	s_mul_i32 s40, s29, s0
	s_mul_i32 s42, s35, s34
	s_mul_hi_u32 s0, s35, s0
	s_mul_hi_u32 s41, s35, s34
	s_add_u32 s0, s0, s42
	s_addc_u32 s35, 0, s41
	s_add_u32 s0, s0, s40
	s_mul_hi_u32 s1, s29, s34
	s_addc_u32 s0, s35, s39
	s_addc_u32 s1, s1, 0
	s_mul_i32 s34, s29, s34
	s_add_u32 s0, s0, s34
	s_addc_u32 s1, 0, s1
	v_add_co_u32_e32 v3, vcc, s0, v3
	s_cmp_lg_u64 vcc, 0
	s_addc_u32 s0, s29, s1
	v_readfirstlane_b32 s34, v3
	s_mul_i32 s29, s24, s0
	s_mul_hi_u32 s35, s24, s34
	s_mul_hi_u32 s1, s24, s0
	s_add_u32 s29, s35, s29
	s_addc_u32 s1, 0, s1
	s_mul_hi_u32 s39, s25, s34
	s_mul_i32 s34, s25, s34
	s_add_u32 s29, s29, s34
	s_mul_hi_u32 s35, s25, s0
	s_addc_u32 s1, s1, s39
	s_addc_u32 s29, s35, 0
	s_mul_i32 s0, s25, s0
	s_add_u32 s34, s1, s0
	s_addc_u32 s29, 0, s29
	s_mul_i32 s0, s30, s29
	s_mul_hi_u32 s1, s30, s34
	s_add_i32 s0, s1, s0
	s_mul_i32 s1, s31, s34
	s_add_i32 s35, s0, s1
	s_mul_i32 s1, s30, s34
	v_mov_b32_e32 v3, s1
	s_sub_i32 s0, s25, s35
	v_sub_co_u32_e32 v3, vcc, s24, v3
	s_cmp_lg_u64 vcc, 0
	s_subb_u32 s39, s0, s31
	v_subrev_co_u32_e64 v4, s[0:1], s30, v3
	s_cmp_lg_u64 s[0:1], 0
	s_subb_u32 s0, s39, 0
	s_cmp_ge_u32 s0, s31
	v_readfirstlane_b32 s39, v4
	s_cselect_b32 s1, -1, 0
	s_cmp_ge_u32 s39, s30
	s_cselect_b32 s39, -1, 0
	s_cmp_eq_u32 s0, s31
	s_cselect_b32 s0, s39, s1
	s_add_u32 s1, s34, 1
	s_addc_u32 s39, s29, 0
	s_add_u32 s40, s34, 2
	s_addc_u32 s41, s29, 0
	s_cmp_lg_u32 s0, 0
	s_cselect_b32 s0, s40, s1
	s_cselect_b32 s1, s41, s39
	s_cmp_lg_u64 vcc, 0
	s_subb_u32 s35, s25, s35
	s_cmp_ge_u32 s35, s31
	v_readfirstlane_b32 s40, v3
	s_cselect_b32 s39, -1, 0
	s_cmp_ge_u32 s40, s30
	s_cselect_b32 s40, -1, 0
	s_cmp_eq_u32 s35, s31
	s_cselect_b32 s35, s40, s39
	s_cmp_lg_u32 s35, 0
	s_cselect_b32 s1, s1, s29
	s_cselect_b32 s0, s0, s34
	s_cbranch_execnz .LBB0_9
.LBB0_8:                                ;   in Loop: Header=BB0_6 Depth=1
	v_cvt_f32_u32_e32 v3, s30
	s_sub_i32 s0, 0, s30
	v_rcp_iflag_f32_e32 v3, v3
	v_mul_f32_e32 v3, 0x4f7ffffe, v3
	v_cvt_u32_f32_e32 v3, v3
	v_readfirstlane_b32 s1, v3
	s_mul_i32 s0, s0, s1
	s_mul_hi_u32 s0, s1, s0
	s_add_i32 s1, s1, s0
	s_mul_hi_u32 s0, s24, s1
	s_mul_i32 s29, s0, s30
	s_sub_i32 s29, s24, s29
	s_add_i32 s1, s0, 1
	s_sub_i32 s34, s29, s30
	s_cmp_ge_u32 s29, s30
	s_cselect_b32 s0, s1, s0
	s_cselect_b32 s29, s34, s29
	s_add_i32 s1, s0, 1
	s_cmp_ge_u32 s29, s30
	s_cselect_b32 s0, s1, s0
	s_mov_b32 s1, s28
.LBB0_9:                                ;   in Loop: Header=BB0_6 Depth=1
	s_mul_i32 s23, s30, s23
	s_mul_hi_u32 s29, s30, s22
	s_add_i32 s23, s29, s23
	s_mul_i32 s29, s31, s22
	s_add_i32 s23, s23, s29
	s_mul_i32 s29, s0, s31
	s_mul_hi_u32 s31, s0, s30
	s_load_dwordx2 s[34:35], s[4:5], 0x0
	s_add_i32 s29, s31, s29
	s_mul_i32 s31, s1, s30
	s_mul_i32 s22, s30, s22
	s_add_i32 s29, s29, s31
	s_mul_i32 s30, s0, s30
	s_sub_u32 s24, s24, s30
	s_subb_u32 s25, s25, s29
	s_waitcnt lgkmcnt(0)
	s_mul_i32 s25, s34, s25
	s_mul_hi_u32 s29, s34, s24
	s_add_i32 s25, s29, s25
	s_mul_i32 s29, s35, s24
	s_add_i32 s25, s25, s29
	s_mul_i32 s24, s34, s24
	s_add_u32 s38, s24, s38
	s_addc_u32 s37, s25, s37
	s_add_u32 s26, s26, 1
	s_addc_u32 s27, s27, 0
	;; [unrolled: 2-line block ×3, first 2 shown]
	v_cmp_ge_u64_e32 vcc, s[26:27], v[1:2]
	s_add_u32 s12, s12, 8
	s_addc_u32 s13, s13, 0
	s_cbranch_vccnz .LBB0_12
; %bb.10:                               ;   in Loop: Header=BB0_6 Depth=1
	s_mov_b64 s[24:25], s[0:1]
	s_branch .LBB0_6
.LBB0_11:                               ;   in Loop: Header=BB0_6 Depth=1
                                        ; implicit-def: $sgpr0_sgpr1
	s_branch .LBB0_8
.LBB0_12:
	v_mov_b32_e32 v1, s22
	v_mov_b32_e32 v2, s23
	v_cmp_lt_u64_e32 vcc, s[6:7], v[1:2]
	s_mov_b64 s[24:25], 0
	s_cbranch_vccnz .LBB0_14
; %bb.13:
	v_cvt_f32_u32_e32 v1, s22
	s_sub_i32 s0, 0, s22
	v_rcp_iflag_f32_e32 v1, v1
	v_mul_f32_e32 v1, 0x4f7ffffe, v1
	v_cvt_u32_f32_e32 v1, v1
	v_readfirstlane_b32 s1, v1
	s_mul_i32 s0, s0, s1
	s_mul_hi_u32 s0, s1, s0
	s_add_i32 s1, s1, s0
	s_mul_hi_u32 s0, s6, s1
	s_mul_i32 s4, s0, s22
	s_sub_i32 s4, s6, s4
	s_add_i32 s1, s0, 1
	s_sub_i32 s5, s4, s22
	s_cmp_ge_u32 s4, s22
	s_cselect_b32 s0, s1, s0
	s_cselect_b32 s4, s5, s4
	s_add_i32 s1, s0, 1
	s_cmp_ge_u32 s4, s22
	s_cselect_b32 s24, s1, s0
.LBB0_14:
	s_lshl_b64 s[0:1], s[10:11], 3
	s_add_u32 s0, s14, s0
	s_addc_u32 s1, s15, s1
	s_load_dwordx2 s[0:1], s[0:1], 0x0
	s_mov_b32 s4, 0x1999999a
	v_mul_hi_u32 v36, v0, s4
                                        ; implicit-def: $vgpr3_vgpr4
                                        ; implicit-def: $vgpr11_vgpr12
                                        ; implicit-def: $vgpr15_vgpr16
                                        ; implicit-def: $vgpr19_vgpr20
                                        ; implicit-def: $vgpr7_vgpr8
	s_waitcnt lgkmcnt(0)
	s_mul_i32 s1, s1, s24
	s_mul_hi_u32 s4, s0, s24
	s_mul_i32 s0, s0, s24
	s_add_i32 s1, s4, s1
	v_mul_u32_u24_e32 v1, 10, v36
	s_add_u32 s4, s0, s38
	v_sub_u32_e32 v35, v0, v1
	s_addc_u32 s5, s1, s37
	v_mov_b32_e32 v1, s33
	v_add_co_u32_e32 v33, vcc, s36, v35
	v_addc_co_u32_e32 v34, vcc, 0, v1, vcc
	s_add_u32 s0, s36, 10
	v_mov_b32_e32 v1, s20
	s_addc_u32 s1, s33, 0
	v_mov_b32_e32 v2, s21
	v_cmp_le_u64_e32 vcc, s[0:1], v[1:2]
	v_cmp_gt_u64_e64 s[0:1], s[20:21], v[33:34]
	s_or_b64 s[0:1], vcc, s[0:1]
	s_and_saveexec_b64 s[6:7], s[0:1]
	s_cbranch_execz .LBB0_16
; %bb.15:
	v_mad_u64_u32 v[1:2], s[10:11], s18, v35, 0
	v_mad_u64_u32 v[3:4], s[10:11], s16, v36, 0
	v_add_u32_e32 v8, 40, v36
	v_add_u32_e32 v18, 0x78, v36
	v_mad_u64_u32 v[5:6], s[10:11], s19, v35, v[2:3]
	v_mov_b32_e32 v2, v4
	v_mad_u64_u32 v[6:7], s[10:11], s17, v36, v[2:3]
	s_lshl_b64 s[10:11], s[4:5], 4
	s_add_u32 s12, s2, s10
	s_addc_u32 s10, s3, s11
	v_mov_b32_e32 v2, v5
	v_mov_b32_e32 v4, v6
	;; [unrolled: 1-line block ×3, first 2 shown]
	v_mad_u64_u32 v[5:6], s[10:11], s16, v8, 0
	v_lshlrev_b64 v[1:2], 4, v[1:2]
	v_add_co_u32_e32 v23, vcc, s12, v1
	v_addc_co_u32_e32 v24, vcc, v7, v2, vcc
	v_lshlrev_b64 v[1:2], 4, v[3:4]
	v_mov_b32_e32 v3, v6
	v_mad_u64_u32 v[3:4], s[10:11], s17, v8, v[3:4]
	v_add_co_u32_e32 v9, vcc, v23, v1
	v_mov_b32_e32 v6, v3
	v_add_u32_e32 v3, 0x50, v36
	v_mad_u64_u32 v[11:12], s[10:11], s16, v3, 0
	v_addc_co_u32_e32 v10, vcc, v24, v2, vcc
	v_lshlrev_b64 v[1:2], 4, v[5:6]
	v_add_co_u32_e32 v13, vcc, v23, v1
	v_mov_b32_e32 v1, v12
	v_mad_u64_u32 v[15:16], s[10:11], s17, v3, v[1:2]
	v_mad_u64_u32 v[16:17], s[10:11], s16, v18, 0
	v_mov_b32_e32 v12, v15
	v_addc_co_u32_e32 v14, vcc, v24, v2, vcc
	global_load_dwordx4 v[5:8], v[9:10], off
	global_load_dwordx4 v[1:4], v[13:14], off
	v_lshlrev_b64 v[9:10], 4, v[11:12]
	v_mov_b32_e32 v11, v17
	v_mad_u64_u32 v[11:12], s[10:11], s17, v18, v[11:12]
	v_add_u32_e32 v12, 0xa0, v36
	v_mad_u64_u32 v[13:14], s[10:11], s16, v12, 0
	v_mov_b32_e32 v17, v11
	v_add_co_u32_e32 v21, vcc, v23, v9
	v_mov_b32_e32 v11, v14
	v_mad_u64_u32 v[14:15], s[10:11], s17, v12, v[11:12]
	v_addc_co_u32_e32 v22, vcc, v24, v10, vcc
	v_lshlrev_b64 v[9:10], 4, v[16:17]
	v_lshlrev_b64 v[13:14], 4, v[13:14]
	v_add_co_u32_e32 v15, vcc, v23, v9
	v_addc_co_u32_e32 v16, vcc, v24, v10, vcc
	v_add_co_u32_e32 v13, vcc, v23, v13
	v_addc_co_u32_e32 v14, vcc, v24, v14, vcc
	global_load_dwordx4 v[17:20], v[21:22], off
	global_load_dwordx4 v[9:12], v[15:16], off
	s_nop 0
	global_load_dwordx4 v[13:16], v[13:14], off
.LBB0_16:
	s_or_b64 exec, exec, s[6:7]
	s_waitcnt vmcnt(3)
	v_add_f64 v[21:22], v[1:2], v[5:6]
	v_add_f64 v[23:24], v[3:4], v[7:8]
	s_waitcnt vmcnt(2)
	v_add_f64 v[29:30], v[1:2], -v[17:18]
	v_add_f64 v[31:32], v[17:18], -v[1:2]
	s_waitcnt vmcnt(0)
	v_add_f64 v[43:44], v[1:2], v[13:14]
	v_add_f64 v[45:46], v[1:2], -v[13:14]
	v_add_f64 v[25:26], v[9:10], v[17:18]
	v_add_f64 v[27:28], v[19:20], -v[11:12]
	v_add_f64 v[21:22], v[17:18], v[21:22]
	v_add_f64 v[23:24], v[19:20], v[23:24]
	;; [unrolled: 1-line block ×3, first 2 shown]
	v_add_f64 v[17:18], v[17:18], -v[9:10]
	v_add_f64 v[47:48], v[13:14], -v[9:10]
	v_fma_f64 v[43:44], v[43:44], -0.5, v[5:6]
	s_mov_b32 s6, 0x134454ff
	s_mov_b32 s7, 0xbfee6f0e
	v_add_f64 v[1:2], v[9:10], v[21:22]
	v_add_f64 v[21:22], v[11:12], v[23:24]
	;; [unrolled: 1-line block ×3, first 2 shown]
	v_add_f64 v[9:10], v[9:10], -v[13:14]
	s_mov_b32 s11, 0x3fee6f0e
	s_mov_b32 s10, s6
	v_add_f64 v[39:40], v[3:4], -v[19:20]
	v_add_f64 v[19:20], v[19:20], -v[3:4]
	v_add_f64 v[1:2], v[13:14], v[1:2]
	v_add_f64 v[41:42], v[3:4], -v[15:16]
	v_fma_f64 v[13:14], v[23:24], -0.5, v[7:8]
	v_add_f64 v[49:50], v[15:16], -v[11:12]
	v_add_f64 v[11:12], v[11:12], -v[15:16]
	v_add_f64 v[3:4], v[15:16], v[21:22]
	v_fma_f64 v[5:6], v[25:26], -0.5, v[5:6]
	v_fma_f64 v[7:8], v[37:38], -0.5, v[7:8]
	v_fma_f64 v[15:16], v[27:28], s[10:11], v[43:44]
	s_mov_b32 s12, 0x4755a5e
	v_fma_f64 v[21:22], v[17:18], s[6:7], v[13:14]
	s_mov_b32 s13, 0xbfe2cf23
	s_mov_b32 s15, 0x3fe2cf23
	;; [unrolled: 1-line block ×3, first 2 shown]
	v_add_f64 v[19:20], v[11:12], v[19:20]
	v_fma_f64 v[23:24], v[41:42], s[6:7], v[5:6]
	v_fma_f64 v[11:12], v[41:42], s[12:13], v[15:16]
	;; [unrolled: 1-line block ×8, first 2 shown]
	v_add_f64 v[9:10], v[9:10], v[31:32]
	v_add_f64 v[29:30], v[47:48], v[29:30]
	v_fma_f64 v[23:24], v[27:28], s[12:13], v[23:24]
	v_add_f64 v[31:32], v[49:50], v[39:40]
	v_fma_f64 v[21:22], v[41:42], s[14:15], v[21:22]
	v_fma_f64 v[25:26], v[17:18], s[14:15], v[25:26]
	;; [unrolled: 1-line block ×5, first 2 shown]
	s_mov_b32 s20, 0x372fe950
	s_mov_b32 s21, 0x3fd3c6ef
	v_fma_f64 v[5:6], v[9:10], s[20:21], v[11:12]
	v_fma_f64 v[7:8], v[19:20], s[20:21], v[15:16]
	;; [unrolled: 1-line block ×8, first 2 shown]
	s_movk_i32 s6, 0x320
	v_mad_u32_u24 v21, v36, s6, 0
	s_movk_i32 s6, 0xfa
	v_lshl_add_u32 v22, v35, 4, v21
	v_cmp_gt_u32_e32 vcc, s6, v0
	v_lshlrev_b32_e32 v34, 4, v35
	ds_write_b128 v22, v[1:4]
	ds_write_b128 v22, v[9:12] offset:160
	ds_write_b128 v22, v[5:8] offset:320
	;; [unrolled: 1-line block ×4, first 2 shown]
	s_waitcnt lgkmcnt(0)
	s_barrier
	s_waitcnt lgkmcnt(0)
                                        ; implicit-def: $vgpr23_vgpr24
                                        ; implicit-def: $vgpr31_vgpr32
                                        ; implicit-def: $vgpr27_vgpr28
	s_and_saveexec_b64 s[6:7], vcc
	s_cbranch_execz .LBB0_18
; %bb.17:
	v_mul_i32_i24_e32 v1, 0xfffffd80, v36
	v_add3_u32 v29, v21, v1, v34
	ds_read_b128 v[1:4], v29
	ds_read_b128 v[9:12], v29 offset:4000
	ds_read_b128 v[5:8], v29 offset:8000
	ds_read_b128 v[13:16], v29 offset:12000
	ds_read_b128 v[17:20], v29 offset:16000
	ds_read_b128 v[25:28], v29 offset:20000
	ds_read_b128 v[21:24], v29 offset:24000
	ds_read_b128 v[29:32], v29 offset:28000
.LBB0_18:
	s_or_b64 exec, exec, s[6:7]
	s_waitcnt lgkmcnt(0)
	s_barrier
	s_and_saveexec_b64 s[6:7], vcc
	s_cbranch_execz .LBB0_20
; %bb.19:
	s_mov_b32 s10, 0x33333334
	v_mul_hi_u32 v37, v36, s10
	v_mul_lo_u16_e32 v65, 52, v36
	v_mov_b32_e32 v66, 40
	v_mul_u32_u24_sdwa v74, v65, v66 dst_sel:DWORD dst_unused:UNUSED_PAD src0_sel:BYTE_1 src1_sel:DWORD
	v_mul_u32_u24_e32 v37, 5, v37
	v_sub_u32_e32 v73, v36, v37
	v_mul_u32_u24_e32 v37, 7, v73
	v_lshlrev_b32_e32 v61, 4, v37
	global_load_dwordx4 v[37:40], v61, s[8:9]
	global_load_dwordx4 v[41:44], v61, s[8:9] offset:64
	global_load_dwordx4 v[45:48], v61, s[8:9] offset:32
	;; [unrolled: 1-line block ×5, first 2 shown]
	s_nop 0
	global_load_dwordx4 v[61:64], v61, s[8:9] offset:96
	s_mov_b32 s10, 0x667f3bcd
	s_mov_b32 s11, 0x3fe6a09e
	;; [unrolled: 1-line block ×4, first 2 shown]
	s_waitcnt vmcnt(6)
	v_mul_f64 v[65:66], v[9:10], v[39:40]
	v_mul_f64 v[39:40], v[11:12], v[39:40]
	s_waitcnt vmcnt(5)
	v_mul_f64 v[67:68], v[25:26], v[43:44]
	v_mul_f64 v[43:44], v[27:28], v[43:44]
	;; [unrolled: 3-line block ×4, first 2 shown]
	v_fma_f64 v[11:12], v[11:12], v[37:38], -v[65:66]
	v_fma_f64 v[9:10], v[9:10], v[37:38], v[39:40]
	s_waitcnt vmcnt(2)
	v_mul_f64 v[37:38], v[17:18], v[55:56]
	s_waitcnt vmcnt(1)
	v_mul_f64 v[39:40], v[23:24], v[59:60]
	;; [unrolled: 2-line block ×3, first 2 shown]
	v_mul_f64 v[59:60], v[21:22], v[59:60]
	v_fma_f64 v[27:28], v[27:28], v[41:42], -v[67:68]
	v_fma_f64 v[25:26], v[25:26], v[41:42], v[43:44]
	v_mul_f64 v[41:42], v[29:30], v[63:64]
	v_mul_f64 v[43:44], v[19:20], v[55:56]
	v_fma_f64 v[13:14], v[13:14], v[45:46], v[69:70]
	v_fma_f64 v[5:6], v[5:6], v[49:50], v[71:72]
	v_fma_f64 v[19:20], v[19:20], v[53:54], -v[37:38]
	v_fma_f64 v[21:22], v[21:22], v[57:58], v[39:40]
	v_fma_f64 v[15:16], v[15:16], v[45:46], -v[47:48]
	;; [unrolled: 2-line block ×3, first 2 shown]
	v_fma_f64 v[23:24], v[23:24], v[57:58], -v[59:60]
	v_fma_f64 v[31:32], v[31:32], v[61:62], -v[41:42]
	v_fma_f64 v[17:18], v[17:18], v[53:54], v[43:44]
	v_add_f64 v[19:20], v[3:4], -v[19:20]
	v_add_f64 v[21:22], v[5:6], -v[21:22]
	;; [unrolled: 1-line block ×8, first 2 shown]
	v_or_b32_e32 v37, v74, v73
	v_mul_i32_i24_e32 v51, 0xa0, v37
	v_add_f64 v[37:38], v[19:20], -v[21:22]
	v_add_f64 v[39:40], v[27:28], -v[29:30]
	v_fma_f64 v[3:4], v[3:4], 2.0, -v[19:20]
	v_fma_f64 v[7:8], v[7:8], 2.0, -v[23:24]
	;; [unrolled: 1-line block ×8, first 2 shown]
	v_add_f64 v[21:22], v[25:26], v[31:32]
	v_add_f64 v[29:30], v[17:18], v[23:24]
	v_add_f64 v[23:24], v[3:4], -v[7:8]
	v_fma_f64 v[31:32], v[19:20], 2.0, -v[37:38]
	v_fma_f64 v[19:20], v[27:28], 2.0, -v[39:40]
	v_add_f64 v[7:8], v[9:10], -v[13:14]
	v_add_f64 v[13:14], v[11:12], -v[15:16]
	;; [unrolled: 1-line block ×3, first 2 shown]
	v_fma_f64 v[15:16], v[25:26], 2.0, -v[21:22]
	v_fma_f64 v[25:26], v[17:18], 2.0, -v[29:30]
	v_fma_f64 v[5:6], v[39:40], s[10:11], v[37:38]
	v_fma_f64 v[17:18], v[21:22], s[10:11], v[29:30]
	;; [unrolled: 1-line block ×3, first 2 shown]
	v_fma_f64 v[43:44], v[3:4], 2.0, -v[23:24]
	v_fma_f64 v[45:46], v[11:12], 2.0, -v[13:14]
	;; [unrolled: 1-line block ×4, first 2 shown]
	v_fma_f64 v[49:50], v[15:16], s[12:13], v[25:26]
	v_fma_f64 v[3:4], v[21:22], s[12:13], v[5:6]
	v_add_f64 v[7:8], v[23:24], -v[7:8]
	v_add_f64 v[5:6], v[27:28], v[13:14]
	v_fma_f64 v[1:2], v[39:40], s[10:11], v[17:18]
	v_fma_f64 v[11:12], v[15:16], s[12:13], v[41:42]
	v_add_f64 v[15:16], v[43:44], -v[45:46]
	v_add_f64 v[13:14], v[47:48], -v[9:10]
	v_fma_f64 v[9:10], v[19:20], s[10:11], v[49:50]
	v_fma_f64 v[19:20], v[37:38], 2.0, -v[3:4]
	v_fma_f64 v[23:24], v[23:24], 2.0, -v[7:8]
	;; [unrolled: 1-line block ×8, first 2 shown]
	v_add3_u32 v37, 0, v51, v34
	ds_write_b128 v37, v[5:8] offset:4800
	ds_write_b128 v37, v[21:24] offset:1600
	;; [unrolled: 1-line block ×5, first 2 shown]
	ds_write_b128 v37, v[29:32]
	ds_write_b128 v37, v[25:28] offset:800
	ds_write_b128 v37, v[1:4] offset:5600
.LBB0_20:
	s_or_b64 exec, exec, s[6:7]
	s_waitcnt lgkmcnt(0)
	s_barrier
	s_and_saveexec_b64 s[6:7], s[0:1]
	s_cbranch_execz .LBB0_22
; %bb.21:
	s_mov_b32 s0, 0x6666667
	v_mul_hi_u32 v1, v36, s0
	s_movk_i32 s1, 0xffd8
	v_mul_lo_u32 v10, v33, s1
	s_add_i32 s0, 0, 0x7d00
	v_mul_u32_u24_e32 v1, 40, v1
	v_sub_u32_e32 v9, v36, v1
	v_add_u32_e32 v1, 0xa0, v9
	v_lshlrev_b32_e32 v12, 6, v9
	v_mul_lo_u32 v14, v1, v33
	global_load_dwordx4 v[5:8], v12, s[8:9] offset:560
	global_load_dwordx4 v[1:4], v12, s[8:9] offset:576
	v_mul_lo_u32 v33, v9, v33
	s_mov_b32 s7, 0x3fee6f0e
	v_and_b32_e32 v11, 63, v14
	v_lshrrev_b32_e32 v16, 2, v14
	v_add_u32_e32 v13, v14, v10
	v_lshrrev_b32_e32 v14, 8, v14
	v_lshl_add_u32 v15, v11, 4, 0
	v_and_b32_e32 v11, 0x3f0, v16
	v_and_b32_e32 v17, 63, v13
	;; [unrolled: 1-line block ×3, first 2 shown]
	v_add_u32_e32 v16, s0, v11
	v_lshl_add_u32 v41, v17, 4, 0
	v_add_u32_e32 v14, s0, v14
	ds_read_b128 v[17:20], v15 offset:32000
	ds_read_b128 v[21:24], v14 offset:2048
	;; [unrolled: 1-line block ×3, first 2 shown]
	v_lshrrev_b32_e32 v29, 2, v13
	v_add_u32_e32 v11, v13, v10
	v_lshrrev_b32_e32 v13, 8, v13
	v_and_b32_e32 v13, 0x3f0, v13
	v_add_u32_e32 v13, s0, v13
	ds_read_b128 v[13:16], v13 offset:2048
	s_waitcnt lgkmcnt(1)
	v_mul_f64 v[31:32], v[19:20], v[27:28]
	v_mul_f64 v[49:50], v[17:18], v[27:28]
	v_and_b32_e32 v42, 0x3f0, v29
	global_load_dwordx4 v[27:30], v12, s[8:9] offset:608
	global_load_dwordx4 v[37:40], v12, s[8:9] offset:592
	v_add_u32_e32 v45, s0, v42
	ds_read_b128 v[41:44], v41 offset:32000
	ds_read_b128 v[45:48], v45 offset:1024
	v_and_b32_e32 v12, 63, v11
	v_lshl_add_u32 v12, v12, 4, 0
	v_fma_f64 v[63:64], v[17:18], v[25:26], -v[31:32]
	v_and_b32_e32 v17, 63, v33
	v_lshrrev_b32_e32 v18, 2, v33
	v_fma_f64 v[25:26], v[19:20], v[25:26], v[49:50]
	v_lshl_add_u32 v49, v17, 4, 0
	v_and_b32_e32 v17, 0x3f0, v18
	v_add_u32_e32 v17, s0, v17
	ds_read_b128 v[17:20], v17 offset:1024
	s_waitcnt lgkmcnt(1)
	v_mul_f64 v[31:32], v[43:44], v[47:48]
	v_mul_f64 v[55:56], v[41:42], v[47:48]
	ds_read_b128 v[47:50], v49 offset:32000
	v_lshrrev_b32_e32 v33, 8, v33
	v_and_b32_e32 v33, 0x3f0, v33
	v_add_u32_e32 v33, s0, v33
	ds_read_b128 v[51:54], v33 offset:2048
	s_waitcnt lgkmcnt(1)
	v_mul_f64 v[57:58], v[49:50], v[19:20]
	v_mul_f64 v[19:20], v[47:48], v[19:20]
	v_lshrrev_b32_e32 v33, 2, v11
	v_fma_f64 v[65:66], v[41:42], v[45:46], -v[31:32]
	v_add_u32_e32 v31, v11, v10
	v_lshrrev_b32_e32 v10, 8, v11
	v_and_b32_e32 v33, 0x3f0, v33
	v_and_b32_e32 v10, 0x3f0, v10
	v_add_u32_e32 v33, s0, v33
	v_fma_f64 v[67:68], v[43:44], v[45:46], v[55:56]
	v_fma_f64 v[69:70], v[47:48], v[17:18], -v[57:58]
	v_fma_f64 v[71:72], v[49:50], v[17:18], v[19:20]
	v_add_u32_e32 v10, s0, v10
	ds_read_b128 v[17:20], v12 offset:32000
	ds_read_b128 v[41:44], v10 offset:2048
	ds_read_b128 v[45:48], v33 offset:1024
	v_lshrrev_b32_e32 v10, 8, v31
	v_and_b32_e32 v10, 0x3f0, v10
	v_and_b32_e32 v12, 63, v31
	v_lshrrev_b32_e32 v31, 2, v31
	v_add_u32_e32 v10, s0, v10
	v_lshl_add_u32 v12, v12, 4, 0
	v_and_b32_e32 v31, 0x3f0, v31
	ds_read_b128 v[55:58], v10 offset:2048
	s_waitcnt lgkmcnt(1)
	v_mul_f64 v[10:11], v[19:20], v[47:48]
	v_mul_f64 v[73:74], v[17:18], v[47:48]
	v_add_u32_e32 v31, s0, v31
	ds_read_b128 v[47:50], v12 offset:32000
	ds_read_b128 v[59:62], v31 offset:1024
	v_mul_u32_u24_e32 v12, 0xa0, v36
	v_add3_u32 v12, 0, v12, v34
	ds_read_b128 v[31:34], v12 offset:6400
	s_mov_b32 s0, 0x134454ff
	s_waitcnt lgkmcnt(1)
	v_mul_f64 v[75:76], v[49:50], v[61:62]
	v_fma_f64 v[10:11], v[17:18], v[45:46], -v[10:11]
	v_mul_f64 v[61:62], v[47:48], v[61:62]
	v_fma_f64 v[73:74], v[19:20], v[45:46], v[73:74]
	ds_read_b128 v[17:20], v12
	s_waitcnt vmcnt(3) lgkmcnt(1)
	v_mul_f64 v[77:78], v[31:32], v[7:8]
	v_mul_f64 v[7:8], v[33:34], v[7:8]
	s_mov_b32 s1, 0xbfee6f0e
	v_fma_f64 v[75:76], v[47:48], v[59:60], -v[75:76]
	ds_read_b128 v[45:48], v12 offset:12800
	v_fma_f64 v[49:50], v[49:50], v[59:60], v[61:62]
	s_mov_b32 s6, s0
	s_mov_b32 s8, 0x4755a5e
	v_fma_f64 v[59:60], v[33:34], v[5:6], -v[77:78]
	v_fma_f64 v[61:62], v[31:32], v[5:6], v[7:8]
	ds_read_b128 v[5:8], v12 offset:19200
	s_waitcnt vmcnt(2) lgkmcnt(1)
	v_mul_f64 v[77:78], v[45:46], v[3:4]
	v_mul_f64 v[3:4], v[47:48], v[3:4]
	ds_read_b128 v[31:34], v12 offset:25600
	s_mov_b32 s9, 0xbfe2cf23
	s_mov_b32 s11, 0x3fe2cf23
	;; [unrolled: 1-line block ×5, first 2 shown]
	v_fma_f64 v[47:48], v[47:48], v[1:2], -v[77:78]
	v_fma_f64 v[45:46], v[45:46], v[1:2], v[3:4]
	v_mul_f64 v[81:82], v[73:74], v[43:44]
	v_mul_hi_u32_u24_e32 v0, 0xa3d70b, v0
	s_waitcnt vmcnt(0) lgkmcnt(1)
	v_mul_f64 v[1:2], v[5:6], v[39:40]
	v_mul_f64 v[3:4], v[7:8], v[39:40]
	s_waitcnt lgkmcnt(0)
	v_mul_f64 v[39:40], v[31:32], v[29:30]
	v_mul_f64 v[29:30], v[33:34], v[29:30]
	v_fma_f64 v[7:8], v[7:8], v[37:38], -v[1:2]
	v_fma_f64 v[5:6], v[5:6], v[37:38], v[3:4]
	v_mul_f64 v[1:2], v[25:26], v[23:24]
	v_mul_f64 v[3:4], v[63:64], v[23:24]
	v_fma_f64 v[23:24], v[33:34], v[27:28], -v[39:40]
	v_fma_f64 v[27:28], v[31:32], v[27:28], v[29:30]
	v_mul_f64 v[33:34], v[67:68], v[15:16]
	v_mul_f64 v[15:16], v[65:66], v[15:16]
	v_add_f64 v[29:30], v[47:48], v[7:8]
	v_add_f64 v[31:32], v[45:46], v[5:6]
	v_fma_f64 v[1:2], v[21:22], v[63:64], -v[1:2]
	v_fma_f64 v[3:4], v[21:22], v[25:26], v[3:4]
	v_add_f64 v[36:37], v[59:60], -v[23:24]
	v_add_f64 v[38:39], v[61:62], -v[27:28]
	;; [unrolled: 1-line block ×3, first 2 shown]
	v_fma_f64 v[25:26], v[13:14], v[65:66], -v[33:34]
	v_fma_f64 v[29:30], v[29:30], -0.5, v[19:20]
	v_fma_f64 v[31:32], v[31:32], -0.5, v[17:18]
	v_add_f64 v[33:34], v[23:24], -v[7:8]
	v_fma_f64 v[12:13], v[13:14], v[67:68], v[15:16]
	v_add_f64 v[14:15], v[61:62], -v[45:46]
	v_add_f64 v[63:64], v[27:28], -v[5:6]
	v_add_f64 v[65:66], v[47:48], -v[7:8]
	v_add_f64 v[79:80], v[45:46], -v[5:6]
	v_fma_f64 v[77:78], v[38:39], s[0:1], v[29:30]
	v_fma_f64 v[67:68], v[36:37], s[6:7], v[31:32]
	v_add_f64 v[21:22], v[21:22], v[33:34]
	v_fma_f64 v[29:30], v[38:39], s[6:7], v[29:30]
	v_fma_f64 v[31:32], v[36:37], s[0:1], v[31:32]
	v_add_f64 v[14:15], v[14:15], v[63:64]
	v_fma_f64 v[63:64], v[79:80], s[8:9], v[77:78]
	v_fma_f64 v[33:34], v[65:66], s[10:11], v[67:68]
	v_fma_f64 v[29:30], v[79:80], s[10:11], v[29:30]
	v_fma_f64 v[31:32], v[65:66], s[8:9], v[31:32]
	v_fma_f64 v[63:64], v[21:22], s[12:13], v[63:64]
	v_fma_f64 v[33:34], v[14:15], s[12:13], v[33:34]
	v_fma_f64 v[14:15], v[14:15], s[12:13], v[31:32]
	v_mul_f64 v[77:78], v[63:64], v[3:4]
	v_mul_f64 v[67:68], v[33:34], v[3:4]
	v_fma_f64 v[3:4], v[63:64], v[1:2], -v[67:68]
	v_fma_f64 v[1:2], v[33:34], v[1:2], v[77:78]
	v_mul_f64 v[33:34], v[10:11], v[43:44]
	v_add_f64 v[43:44], v[61:62], v[27:28]
	v_add_f64 v[63:64], v[59:60], v[23:24]
	v_fma_f64 v[10:11], v[41:42], v[10:11], -v[81:82]
	v_add_f64 v[67:68], v[47:48], -v[59:60]
	v_fma_f64 v[33:34], v[41:42], v[73:74], v[33:34]
	v_mul_f64 v[40:41], v[75:76], v[57:58]
	v_mul_f64 v[57:58], v[49:50], v[57:58]
	v_add_f64 v[73:74], v[7:8], -v[23:24]
	v_fma_f64 v[42:43], v[43:44], -0.5, v[17:18]
	v_fma_f64 v[63:64], v[63:64], -0.5, v[19:20]
	v_add_f64 v[16:17], v[17:18], v[61:62]
	v_add_f64 v[18:19], v[19:20], v[59:60]
	v_fma_f64 v[20:21], v[21:22], s[12:13], v[29:30]
	v_fma_f64 v[40:41], v[55:56], v[49:50], v[40:41]
	v_fma_f64 v[49:50], v[55:56], v[75:76], -v[57:58]
	v_add_f64 v[55:56], v[45:46], -v[61:62]
	v_add_f64 v[57:58], v[5:6], -v[27:28]
	v_add_f64 v[67:68], v[67:68], v[73:74]
	v_fma_f64 v[73:74], v[65:66], s[0:1], v[42:43]
	v_fma_f64 v[75:76], v[79:80], s[6:7], v[63:64]
	;; [unrolled: 1-line block ×4, first 2 shown]
	v_add_f64 v[16:17], v[16:17], v[45:46]
	v_add_f64 v[18:19], v[18:19], v[47:48]
	v_add_f64 v[55:56], v[55:56], v[57:58]
	v_mul_f64 v[29:30], v[69:70], v[53:54]
	v_fma_f64 v[57:58], v[36:37], s[10:11], v[73:74]
	v_fma_f64 v[61:62], v[38:39], s[8:9], v[75:76]
	;; [unrolled: 1-line block ×4, first 2 shown]
	v_add_f64 v[5:6], v[16:17], v[5:6]
	v_add_f64 v[18:19], v[18:19], v[7:8]
	v_mul_f64 v[46:47], v[14:15], v[40:41]
	v_fma_f64 v[29:30], v[51:52], v[71:72], v[29:30]
	v_fma_f64 v[42:43], v[55:56], s[12:13], v[57:58]
	v_fma_f64 v[44:45], v[67:68], s[12:13], v[61:62]
	v_fma_f64 v[36:37], v[55:56], s[12:13], v[36:37]
	v_fma_f64 v[38:39], v[67:68], s[12:13], v[38:39]
	v_add_f64 v[27:28], v[5:6], v[27:28]
	v_add_f64 v[18:19], v[18:19], v[23:24]
	v_mul_f64 v[53:54], v[71:72], v[53:54]
	v_mul_f64 v[40:41], v[20:21], v[40:41]
	;; [unrolled: 1-line block ×6, first 2 shown]
	v_fma_f64 v[22:23], v[51:52], v[69:70], -v[53:54]
	v_fma_f64 v[14:15], v[14:15], v[49:50], v[40:41]
	v_fma_f64 v[7:8], v[44:45], v[25:26], -v[16:17]
	v_fma_f64 v[5:6], v[42:43], v[25:26], v[12:13]
	v_fma_f64 v[16:17], v[20:21], v[49:50], -v[46:47]
	v_mul_f64 v[20:21], v[27:28], v[29:30]
	v_mul_f64 v[24:25], v[18:19], v[29:30]
	v_mad_u64_u32 v[29:30], s[0:1], s18, v35, 0
	s_movk_i32 s0, 0xc8
	v_mad_u32_u24 v9, v0, s0, v9
	v_fma_f64 v[12:13], v[38:39], v[10:11], -v[31:32]
	v_mad_u64_u32 v[31:32], s[0:1], s16, v9, 0
	v_mov_b32_e32 v0, v30
	v_fma_f64 v[10:11], v[36:37], v[10:11], v[33:34]
	v_mad_u64_u32 v[33:34], s[0:1], s19, v35, v[0:1]
	v_mov_b32_e32 v0, v32
	v_mad_u64_u32 v[34:35], s[0:1], s17, v9, v[0:1]
	v_mov_b32_e32 v30, v33
	s_lshl_b64 s[0:1], s[4:5], 4
	v_fma_f64 v[20:21], v[18:19], v[22:23], -v[20:21]
	v_fma_f64 v[18:19], v[27:28], v[22:23], v[24:25]
	s_add_u32 s0, s2, s0
	v_lshlrev_b64 v[22:23], 4, v[29:30]
	s_addc_u32 s1, s3, s1
	v_add_u32_e32 v26, 40, v9
	v_mov_b32_e32 v0, s1
	v_add_co_u32_e32 v28, vcc, s0, v22
	v_mad_u64_u32 v[24:25], s[0:1], s16, v26, 0
	v_mov_b32_e32 v32, v34
	v_addc_co_u32_e32 v29, vcc, v0, v23, vcc
	v_mov_b32_e32 v0, v25
	v_lshlrev_b64 v[22:23], 4, v[31:32]
	v_mad_u64_u32 v[25:26], s[0:1], s17, v26, v[0:1]
	v_add_co_u32_e32 v22, vcc, v28, v22
	v_addc_co_u32_e32 v23, vcc, v29, v23, vcc
	v_add_u32_e32 v30, 0x50, v9
	global_store_dwordx4 v[22:23], v[18:21], off
	v_mad_u64_u32 v[26:27], s[0:1], s16, v30, 0
	v_lshlrev_b64 v[18:19], 4, v[24:25]
	v_add_co_u32_e32 v18, vcc, v28, v18
	v_addc_co_u32_e32 v19, vcc, v29, v19, vcc
	global_store_dwordx4 v[18:19], v[14:17], off
	v_add_u32_e32 v18, 0x78, v9
	v_mov_b32_e32 v0, v27
	v_mad_u64_u32 v[16:17], s[0:1], s16, v18, 0
	v_mad_u64_u32 v[20:21], s[0:1], s17, v30, v[0:1]
	v_mov_b32_e32 v0, v17
	v_mad_u64_u32 v[17:18], s[0:1], s17, v18, v[0:1]
	v_mov_b32_e32 v27, v20
	v_add_u32_e32 v20, 0xa0, v9
	v_mad_u64_u32 v[18:19], s[0:1], s16, v20, 0
	v_lshlrev_b64 v[14:15], 4, v[26:27]
	v_add_co_u32_e32 v14, vcc, v28, v14
	v_addc_co_u32_e32 v15, vcc, v29, v15, vcc
	v_mov_b32_e32 v0, v19
	global_store_dwordx4 v[14:15], v[10:13], off
	s_nop 0
	v_mad_u64_u32 v[11:12], s[0:1], s17, v20, v[0:1]
	v_lshlrev_b64 v[9:10], 4, v[16:17]
	v_add_co_u32_e32 v9, vcc, v28, v9
	v_addc_co_u32_e32 v10, vcc, v29, v10, vcc
	v_mov_b32_e32 v19, v11
	global_store_dwordx4 v[9:10], v[5:8], off
	s_nop 0
	v_lshlrev_b64 v[5:6], 4, v[18:19]
	v_add_co_u32_e32 v5, vcc, v28, v5
	v_addc_co_u32_e32 v6, vcc, v29, v6, vcc
	global_store_dwordx4 v[5:6], v[1:4], off
.LBB0_22:
	s_endpgm
	.section	.rodata,"a",@progbits
	.p2align	6, 0x0
	.amdhsa_kernel fft_rtc_back_len200_factors_5_8_5_wgs_400_tpt_40_dp_ip_CI_sbcc_twdbase6_3step_dirReg
		.amdhsa_group_segment_fixed_size 0
		.amdhsa_private_segment_fixed_size 0
		.amdhsa_kernarg_size 96
		.amdhsa_user_sgpr_count 6
		.amdhsa_user_sgpr_private_segment_buffer 1
		.amdhsa_user_sgpr_dispatch_ptr 0
		.amdhsa_user_sgpr_queue_ptr 0
		.amdhsa_user_sgpr_kernarg_segment_ptr 1
		.amdhsa_user_sgpr_dispatch_id 0
		.amdhsa_user_sgpr_flat_scratch_init 0
		.amdhsa_user_sgpr_private_segment_size 0
		.amdhsa_uses_dynamic_stack 0
		.amdhsa_system_sgpr_private_segment_wavefront_offset 0
		.amdhsa_system_sgpr_workgroup_id_x 1
		.amdhsa_system_sgpr_workgroup_id_y 0
		.amdhsa_system_sgpr_workgroup_id_z 0
		.amdhsa_system_sgpr_workgroup_info 0
		.amdhsa_system_vgpr_workitem_id 0
		.amdhsa_next_free_vgpr 83
		.amdhsa_next_free_sgpr 43
		.amdhsa_reserve_vcc 1
		.amdhsa_reserve_flat_scratch 0
		.amdhsa_float_round_mode_32 0
		.amdhsa_float_round_mode_16_64 0
		.amdhsa_float_denorm_mode_32 3
		.amdhsa_float_denorm_mode_16_64 3
		.amdhsa_dx10_clamp 1
		.amdhsa_ieee_mode 1
		.amdhsa_fp16_overflow 0
		.amdhsa_exception_fp_ieee_invalid_op 0
		.amdhsa_exception_fp_denorm_src 0
		.amdhsa_exception_fp_ieee_div_zero 0
		.amdhsa_exception_fp_ieee_overflow 0
		.amdhsa_exception_fp_ieee_underflow 0
		.amdhsa_exception_fp_ieee_inexact 0
		.amdhsa_exception_int_div_zero 0
	.end_amdhsa_kernel
	.text
.Lfunc_end0:
	.size	fft_rtc_back_len200_factors_5_8_5_wgs_400_tpt_40_dp_ip_CI_sbcc_twdbase6_3step_dirReg, .Lfunc_end0-fft_rtc_back_len200_factors_5_8_5_wgs_400_tpt_40_dp_ip_CI_sbcc_twdbase6_3step_dirReg
                                        ; -- End function
	.section	.AMDGPU.csdata,"",@progbits
; Kernel info:
; codeLenInByte = 5608
; NumSgprs: 47
; NumVgprs: 83
; ScratchSize: 0
; MemoryBound: 1
; FloatMode: 240
; IeeeMode: 1
; LDSByteSize: 0 bytes/workgroup (compile time only)
; SGPRBlocks: 5
; VGPRBlocks: 20
; NumSGPRsForWavesPerEU: 47
; NumVGPRsForWavesPerEU: 83
; Occupancy: 3
; WaveLimiterHint : 1
; COMPUTE_PGM_RSRC2:SCRATCH_EN: 0
; COMPUTE_PGM_RSRC2:USER_SGPR: 6
; COMPUTE_PGM_RSRC2:TRAP_HANDLER: 0
; COMPUTE_PGM_RSRC2:TGID_X_EN: 1
; COMPUTE_PGM_RSRC2:TGID_Y_EN: 0
; COMPUTE_PGM_RSRC2:TGID_Z_EN: 0
; COMPUTE_PGM_RSRC2:TIDIG_COMP_CNT: 0
	.type	__hip_cuid_66b75342b280376e,@object ; @__hip_cuid_66b75342b280376e
	.section	.bss,"aw",@nobits
	.globl	__hip_cuid_66b75342b280376e
__hip_cuid_66b75342b280376e:
	.byte	0                               ; 0x0
	.size	__hip_cuid_66b75342b280376e, 1

	.ident	"AMD clang version 19.0.0git (https://github.com/RadeonOpenCompute/llvm-project roc-6.4.0 25133 c7fe45cf4b819c5991fe208aaa96edf142730f1d)"
	.section	".note.GNU-stack","",@progbits
	.addrsig
	.addrsig_sym __hip_cuid_66b75342b280376e
	.amdgpu_metadata
---
amdhsa.kernels:
  - .args:
      - .actual_access:  read_only
        .address_space:  global
        .offset:         0
        .size:           8
        .value_kind:     global_buffer
      - .address_space:  global
        .offset:         8
        .size:           8
        .value_kind:     global_buffer
      - .offset:         16
        .size:           8
        .value_kind:     by_value
      - .actual_access:  read_only
        .address_space:  global
        .offset:         24
        .size:           8
        .value_kind:     global_buffer
      - .actual_access:  read_only
        .address_space:  global
        .offset:         32
        .size:           8
        .value_kind:     global_buffer
      - .offset:         40
        .size:           8
        .value_kind:     by_value
      - .actual_access:  read_only
        .address_space:  global
        .offset:         48
        .size:           8
        .value_kind:     global_buffer
      - .actual_access:  read_only
        .address_space:  global
        .offset:         56
        .size:           8
        .value_kind:     global_buffer
      - .offset:         64
        .size:           4
        .value_kind:     by_value
      - .actual_access:  read_only
        .address_space:  global
        .offset:         72
        .size:           8
        .value_kind:     global_buffer
      - .actual_access:  read_only
        .address_space:  global
        .offset:         80
        .size:           8
        .value_kind:     global_buffer
      - .address_space:  global
        .offset:         88
        .size:           8
        .value_kind:     global_buffer
    .group_segment_fixed_size: 0
    .kernarg_segment_align: 8
    .kernarg_segment_size: 96
    .language:       OpenCL C
    .language_version:
      - 2
      - 0
    .max_flat_workgroup_size: 400
    .name:           fft_rtc_back_len200_factors_5_8_5_wgs_400_tpt_40_dp_ip_CI_sbcc_twdbase6_3step_dirReg
    .private_segment_fixed_size: 0
    .sgpr_count:     47
    .sgpr_spill_count: 0
    .symbol:         fft_rtc_back_len200_factors_5_8_5_wgs_400_tpt_40_dp_ip_CI_sbcc_twdbase6_3step_dirReg.kd
    .uniform_work_group_size: 1
    .uses_dynamic_stack: false
    .vgpr_count:     83
    .vgpr_spill_count: 0
    .wavefront_size: 64
amdhsa.target:   amdgcn-amd-amdhsa--gfx906
amdhsa.version:
  - 1
  - 2
...

	.end_amdgpu_metadata
